;; amdgpu-corpus repo=zjin-lcf/HeCBench kind=compiled arch=gfx90a opt=O3
	.text
	.amdgcn_target "amdgcn-amd-amdhsa--gfx90a"
	.amdhsa_code_object_version 6
	.section	.text._Z21ref_fp32_cvt_e4m3fnuzIhfEvPT_PKT0_i,"axG",@progbits,_Z21ref_fp32_cvt_e4m3fnuzIhfEvPT_PKT0_i,comdat
	.protected	_Z21ref_fp32_cvt_e4m3fnuzIhfEvPT_PKT0_i ; -- Begin function _Z21ref_fp32_cvt_e4m3fnuzIhfEvPT_PKT0_i
	.globl	_Z21ref_fp32_cvt_e4m3fnuzIhfEvPT_PKT0_i
	.p2align	8
	.type	_Z21ref_fp32_cvt_e4m3fnuzIhfEvPT_PKT0_i,@function
_Z21ref_fp32_cvt_e4m3fnuzIhfEvPT_PKT0_i: ; @_Z21ref_fp32_cvt_e4m3fnuzIhfEvPT_PKT0_i
; %bb.0:
	s_load_dword s0, s[4:5], 0x24
	s_load_dword s1, s[4:5], 0x10
	s_waitcnt lgkmcnt(0)
	s_and_b32 s0, s0, 0xffff
	s_mul_i32 s6, s6, s0
	v_add_u32_e32 v0, s6, v0
	v_cmp_gt_i32_e32 vcc, s1, v0
	s_and_saveexec_b64 s[0:1], vcc
	s_cbranch_execz .LBB0_8
; %bb.1:
	s_load_dwordx4 s[0:3], s[4:5], 0x0
	v_ashrrev_i32_e32 v1, 31, v0
	v_lshlrev_b64 v[2:3], 2, v[0:1]
	s_waitcnt lgkmcnt(0)
	v_mov_b32_e32 v4, s3
	v_add_co_u32_e32 v2, vcc, s2, v2
	v_addc_co_u32_e32 v3, vcc, v4, v3, vcc
	global_load_dword v2, v[2:3], off
	s_mov_b32 s2, 0x43800000
	v_mov_b32_e32 v4, 0x80
	s_waitcnt vmcnt(0)
	v_and_b32_e32 v3, 0x7fffffff, v2
	v_cmp_gt_u32_e32 vcc, s2, v3
	s_and_saveexec_b64 s[2:3], vcc
	s_cbranch_execz .LBB0_7
; %bb.2:
	s_mov_b32 s4, 0x3bffffff
	v_cmp_lt_u32_e32 vcc, s4, v3
	s_mov_b64 s[4:5], 0
                                        ; implicit-def: $vgpr3
	s_and_saveexec_b64 s[6:7], vcc
	s_xor_b64 s[6:7], exec, s[6:7]
	s_cbranch_execnz .LBB0_9
; %bb.3:
	s_or_saveexec_b64 s[6:7], s[6:7]
                                        ; implicit-def: $sgpr8
	s_xor_b64 exec, exec, s[6:7]
	s_cbranch_execnz .LBB0_10
.LBB0_4:
	s_or_b64 exec, exec, s[6:7]
	v_mov_b32_e32 v4, s8
	s_and_saveexec_b64 s[6:7], s[4:5]
.LBB0_5:
	v_lshrrev_b32_e32 v2, 24, v2
	s_movk_i32 s4, 0x80
	v_and_or_b32 v4, v2, s4, v3
.LBB0_6:
	s_or_b64 exec, exec, s[6:7]
.LBB0_7:
	s_or_b64 exec, exec, s[2:3]
	v_mov_b32_e32 v2, s1
	v_add_co_u32_e32 v0, vcc, s0, v0
	v_addc_co_u32_e32 v1, vcc, v2, v1, vcc
	global_store_byte v[0:1], v4, off
.LBB0_8:
	s_endpgm
.LBB0_9:
	v_bfe_u32 v3, v2, 20, 1
	s_mov_b32 s8, 0x487ffff
	v_add3_u32 v3, v2, v3, s8
	s_mov_b64 s[4:5], exec
	v_lshrrev_b32_e32 v3, 20, v3
	s_or_saveexec_b64 s[6:7], s[6:7]
                                        ; implicit-def: $sgpr8
	s_xor_b64 exec, exec, s[6:7]
	s_cbranch_execz .LBB0_4
.LBB0_10:
	s_mov_b32 s8, 0x46000000
	v_add_f32_e64 v3, |v2|, s8
	v_and_b32_e32 v3, 0xff, v3
	v_cmp_ne_u32_e32 vcc, 0, v3
	s_andn2_b64 s[4:5], s[4:5], exec
	s_and_b64 s[10:11], vcc, exec
	s_mov_b32 s8, 0
	s_or_b64 s[4:5], s[4:5], s[10:11]
	s_or_b64 exec, exec, s[6:7]
	v_mov_b32_e32 v4, s8
	s_and_saveexec_b64 s[6:7], s[4:5]
	s_cbranch_execnz .LBB0_5
	s_branch .LBB0_6
	.section	.rodata,"a",@progbits
	.p2align	6, 0x0
	.amdhsa_kernel _Z21ref_fp32_cvt_e4m3fnuzIhfEvPT_PKT0_i
		.amdhsa_group_segment_fixed_size 0
		.amdhsa_private_segment_fixed_size 0
		.amdhsa_kernarg_size 280
		.amdhsa_user_sgpr_count 6
		.amdhsa_user_sgpr_private_segment_buffer 1
		.amdhsa_user_sgpr_dispatch_ptr 0
		.amdhsa_user_sgpr_queue_ptr 0
		.amdhsa_user_sgpr_kernarg_segment_ptr 1
		.amdhsa_user_sgpr_dispatch_id 0
		.amdhsa_user_sgpr_flat_scratch_init 0
		.amdhsa_user_sgpr_kernarg_preload_length 0
		.amdhsa_user_sgpr_kernarg_preload_offset 0
		.amdhsa_user_sgpr_private_segment_size 0
		.amdhsa_uses_dynamic_stack 0
		.amdhsa_system_sgpr_private_segment_wavefront_offset 0
		.amdhsa_system_sgpr_workgroup_id_x 1
		.amdhsa_system_sgpr_workgroup_id_y 0
		.amdhsa_system_sgpr_workgroup_id_z 0
		.amdhsa_system_sgpr_workgroup_info 0
		.amdhsa_system_vgpr_workitem_id 0
		.amdhsa_next_free_vgpr 5
		.amdhsa_next_free_sgpr 12
		.amdhsa_accum_offset 8
		.amdhsa_reserve_vcc 1
		.amdhsa_reserve_flat_scratch 0
		.amdhsa_float_round_mode_32 0
		.amdhsa_float_round_mode_16_64 0
		.amdhsa_float_denorm_mode_32 3
		.amdhsa_float_denorm_mode_16_64 3
		.amdhsa_dx10_clamp 1
		.amdhsa_ieee_mode 1
		.amdhsa_fp16_overflow 0
		.amdhsa_tg_split 0
		.amdhsa_exception_fp_ieee_invalid_op 0
		.amdhsa_exception_fp_denorm_src 0
		.amdhsa_exception_fp_ieee_div_zero 0
		.amdhsa_exception_fp_ieee_overflow 0
		.amdhsa_exception_fp_ieee_underflow 0
		.amdhsa_exception_fp_ieee_inexact 0
		.amdhsa_exception_int_div_zero 0
	.end_amdhsa_kernel
	.section	.text._Z21ref_fp32_cvt_e4m3fnuzIhfEvPT_PKT0_i,"axG",@progbits,_Z21ref_fp32_cvt_e4m3fnuzIhfEvPT_PKT0_i,comdat
.Lfunc_end0:
	.size	_Z21ref_fp32_cvt_e4m3fnuzIhfEvPT_PKT0_i, .Lfunc_end0-_Z21ref_fp32_cvt_e4m3fnuzIhfEvPT_PKT0_i
                                        ; -- End function
	.section	.AMDGPU.csdata,"",@progbits
; Kernel info:
; codeLenInByte = 340
; NumSgprs: 16
; NumVgprs: 5
; NumAgprs: 0
; TotalNumVgprs: 5
; ScratchSize: 0
; MemoryBound: 0
; FloatMode: 240
; IeeeMode: 1
; LDSByteSize: 0 bytes/workgroup (compile time only)
; SGPRBlocks: 1
; VGPRBlocks: 0
; NumSGPRsForWavesPerEU: 16
; NumVGPRsForWavesPerEU: 5
; AccumOffset: 8
; Occupancy: 8
; WaveLimiterHint : 0
; COMPUTE_PGM_RSRC2:SCRATCH_EN: 0
; COMPUTE_PGM_RSRC2:USER_SGPR: 6
; COMPUTE_PGM_RSRC2:TRAP_HANDLER: 0
; COMPUTE_PGM_RSRC2:TGID_X_EN: 1
; COMPUTE_PGM_RSRC2:TGID_Y_EN: 0
; COMPUTE_PGM_RSRC2:TGID_Z_EN: 0
; COMPUTE_PGM_RSRC2:TIDIG_COMP_CNT: 0
; COMPUTE_PGM_RSRC3_GFX90A:ACCUM_OFFSET: 1
; COMPUTE_PGM_RSRC3_GFX90A:TG_SPLIT: 0
	.section	.text._Z13fp32_cvt_e4m3IhfEvPT_PKT0_i,"axG",@progbits,_Z13fp32_cvt_e4m3IhfEvPT_PKT0_i,comdat
	.protected	_Z13fp32_cvt_e4m3IhfEvPT_PKT0_i ; -- Begin function _Z13fp32_cvt_e4m3IhfEvPT_PKT0_i
	.globl	_Z13fp32_cvt_e4m3IhfEvPT_PKT0_i
	.p2align	8
	.type	_Z13fp32_cvt_e4m3IhfEvPT_PKT0_i,@function
_Z13fp32_cvt_e4m3IhfEvPT_PKT0_i:        ; @_Z13fp32_cvt_e4m3IhfEvPT_PKT0_i
; %bb.0:
	s_load_dword s0, s[4:5], 0x24
	s_load_dword s1, s[4:5], 0x10
	s_waitcnt lgkmcnt(0)
	s_and_b32 s0, s0, 0xffff
	s_mul_i32 s6, s6, s0
	v_add_u32_e32 v0, s6, v0
	v_cmp_gt_i32_e32 vcc, s1, v0
	s_and_saveexec_b64 s[0:1], vcc
	s_cbranch_execz .LBB1_12
; %bb.1:
	s_load_dwordx4 s[4:7], s[4:5], 0x0
	v_ashrrev_i32_e32 v1, 31, v0
	v_lshlrev_b64 v[2:3], 2, v[0:1]
	s_movk_i32 s0, 0x7f
	s_waitcnt lgkmcnt(0)
	v_mov_b32_e32 v4, s7
	v_add_co_u32_e32 v2, vcc, s6, v2
	v_addc_co_u32_e32 v3, vcc, v4, v3, vcc
	global_load_dword v6, v[2:3], off
	v_mov_b32_e32 v3, 0
	s_waitcnt vmcnt(0)
	v_or_b32_sdwa v4, v6, s0 dst_sel:DWORD dst_unused:UNUSED_PAD src0_sel:BYTE_3 src1_sel:DWORD
	v_and_b32_e32 v2, 0x7f800000, v6
	s_mov_b64 s[0:1], 0x7f800000
	v_cmp_ne_u64_e32 vcc, s[0:1], v[2:3]
	s_and_saveexec_b64 s[0:1], vcc
	s_xor_b64 s[2:3], exec, s[0:1]
	s_cbranch_execz .LBB1_11
; %bb.2:
	v_and_b32_e32 v2, 0x7fffffff, v6
	s_mov_b64 s[0:1], 0x43700001
	v_cmp_gt_u64_e32 vcc, s[0:1], v[2:3]
	s_and_saveexec_b64 s[0:1], vcc
	s_xor_b64 s[6:7], exec, s[0:1]
	s_cbranch_execz .LBB1_10
; %bb.3:
	v_cmp_ne_u32_e32 vcc, 0, v6
	v_mov_b32_e32 v4, 0
	s_and_saveexec_b64 s[8:9], vcc
	s_cbranch_execz .LBB1_9
; %bb.4:
	v_bfe_u32 v3, v6, 23, 8
	s_movk_i32 s0, 0x78
	v_and_b32_e32 v2, 0x7fffff, v6
	v_sub_u32_e64 v4, s0, v3 clamp
	v_mov_b32_e32 v8, 0x77
	v_cmp_eq_u32_e32 vcc, 0, v3
	v_or_b32_e32 v5, 0x800000, v2
	v_cndmask_b32_e32 v10, v4, v8, vcc
	v_cndmask_b32_e32 v4, v5, v2, vcc
	v_add_u32_e32 v2, 20, v10
	v_add_u32_e32 v7, 0xffffff89, v3
	v_lshlrev_b64 v[2:3], v2, -1
	v_mov_b32_e32 v5, 0
	v_not_b32_e32 v2, v2
	v_add_u32_e32 v8, 19, v10
	v_and_b32_e32 v2, v4, v2
	v_mov_b32_e32 v3, v5
	v_lshlrev_b64 v[8:9], v8, 1
	v_cmp_eq_u64_e64 s[0:1], v[2:3], v[8:9]
	v_lshrrev_b64 v[2:3], v10, v[4:5]
	v_mov_b32_e32 v4, 0xffffff8a
	v_cndmask_b32_e32 v4, v7, v4, vcc
	v_lshrrev_b32_e32 v7, 23, v2
	v_add3_u32 v7, v4, v10, v7
	v_and_b32_e32 v4, 0x100000, v2
	v_cmp_eq_u64_e32 vcc, 0, v[4:5]
	s_and_b64 vcc, vcc, s[0:1]
	v_subbrev_co_u32_e32 v4, vcc, 0, v2, vcc
	v_and_b32_e32 v4, 0xfffff, v4
	v_add_co_u32_e32 v2, vcc, v4, v2
	v_add_u32_e32 v8, -1, v7
	v_addc_co_u32_e32 v3, vcc, 0, v3, vcc
	v_cmp_ne_u32_e32 vcc, 0, v8
                                        ; implicit-def: $vgpr4
	s_and_saveexec_b64 s[0:1], vcc
	s_xor_b64 s[0:1], exec, s[0:1]
; %bb.5:
	v_and_b32_e32 v4, 0x1000000, v2
	v_cmp_eq_u64_e32 vcc, 0, v[4:5]
	v_bfe_u32 v5, v2, 24, 1
	v_cndmask_b32_e32 v4, v7, v8, vcc
	v_lshrrev_b64 v[2:3], v5, v[2:3]
; %bb.6:
	s_andn2_saveexec_b64 s[0:1], s[0:1]
; %bb.7:
	v_bfe_u32 v4, v2, 23, 1
; %bb.8:
	s_or_b64 exec, exec, s[0:1]
	s_movk_i32 s0, 0x80
	v_lshrrev_b64 v[2:3], 20, v[2:3]
	v_cmp_gt_i32_e32 vcc, 16, v4
	v_and_b32_sdwa v5, v6, s0 dst_sel:DWORD dst_unused:UNUSED_PAD src0_sel:BYTE_3 src1_sel:DWORD
	v_min_i32_e32 v6, 15, v4
	v_cndmask_b32_e32 v3, 0, v3, vcc
	v_cndmask_b32_e32 v2, 7, v2, vcc
	v_cmp_eq_u32_e32 vcc, 0, v4
	v_cmp_eq_u64_e64 s[0:1], 0, v[2:3]
	v_lshl_or_b32 v3, v6, 3, v5
	v_and_or_b32 v2, v2, 7, v3
	s_and_b64 s[0:1], vcc, s[0:1]
	v_cndmask_b32_e64 v4, v2, 0, s[0:1]
.LBB1_9:
	s_or_b64 exec, exec, s[8:9]
.LBB1_10:
	s_andn2_saveexec_b64 s[0:1], s[6:7]
	s_or_b64 exec, exec, s[0:1]
.LBB1_11:
	s_andn2_saveexec_b64 s[0:1], s[2:3]
	s_or_b64 exec, exec, s[0:1]
	v_mov_b32_e32 v2, s5
	v_add_co_u32_e32 v0, vcc, s4, v0
	v_addc_co_u32_e32 v1, vcc, v2, v1, vcc
	global_store_byte v[0:1], v4, off
.LBB1_12:
	s_endpgm
	.section	.rodata,"a",@progbits
	.p2align	6, 0x0
	.amdhsa_kernel _Z13fp32_cvt_e4m3IhfEvPT_PKT0_i
		.amdhsa_group_segment_fixed_size 0
		.amdhsa_private_segment_fixed_size 0
		.amdhsa_kernarg_size 280
		.amdhsa_user_sgpr_count 6
		.amdhsa_user_sgpr_private_segment_buffer 1
		.amdhsa_user_sgpr_dispatch_ptr 0
		.amdhsa_user_sgpr_queue_ptr 0
		.amdhsa_user_sgpr_kernarg_segment_ptr 1
		.amdhsa_user_sgpr_dispatch_id 0
		.amdhsa_user_sgpr_flat_scratch_init 0
		.amdhsa_user_sgpr_kernarg_preload_length 0
		.amdhsa_user_sgpr_kernarg_preload_offset 0
		.amdhsa_user_sgpr_private_segment_size 0
		.amdhsa_uses_dynamic_stack 0
		.amdhsa_system_sgpr_private_segment_wavefront_offset 0
		.amdhsa_system_sgpr_workgroup_id_x 1
		.amdhsa_system_sgpr_workgroup_id_y 0
		.amdhsa_system_sgpr_workgroup_id_z 0
		.amdhsa_system_sgpr_workgroup_info 0
		.amdhsa_system_vgpr_workitem_id 0
		.amdhsa_next_free_vgpr 11
		.amdhsa_next_free_sgpr 10
		.amdhsa_accum_offset 12
		.amdhsa_reserve_vcc 1
		.amdhsa_reserve_flat_scratch 0
		.amdhsa_float_round_mode_32 0
		.amdhsa_float_round_mode_16_64 0
		.amdhsa_float_denorm_mode_32 3
		.amdhsa_float_denorm_mode_16_64 3
		.amdhsa_dx10_clamp 1
		.amdhsa_ieee_mode 1
		.amdhsa_fp16_overflow 0
		.amdhsa_tg_split 0
		.amdhsa_exception_fp_ieee_invalid_op 0
		.amdhsa_exception_fp_denorm_src 0
		.amdhsa_exception_fp_ieee_div_zero 0
		.amdhsa_exception_fp_ieee_overflow 0
		.amdhsa_exception_fp_ieee_underflow 0
		.amdhsa_exception_fp_ieee_inexact 0
		.amdhsa_exception_int_div_zero 0
	.end_amdhsa_kernel
	.section	.text._Z13fp32_cvt_e4m3IhfEvPT_PKT0_i,"axG",@progbits,_Z13fp32_cvt_e4m3IhfEvPT_PKT0_i,comdat
.Lfunc_end1:
	.size	_Z13fp32_cvt_e4m3IhfEvPT_PKT0_i, .Lfunc_end1-_Z13fp32_cvt_e4m3IhfEvPT_PKT0_i
                                        ; -- End function
	.section	.AMDGPU.csdata,"",@progbits
; Kernel info:
; codeLenInByte = 556
; NumSgprs: 14
; NumVgprs: 11
; NumAgprs: 0
; TotalNumVgprs: 11
; ScratchSize: 0
; MemoryBound: 0
; FloatMode: 240
; IeeeMode: 1
; LDSByteSize: 0 bytes/workgroup (compile time only)
; SGPRBlocks: 1
; VGPRBlocks: 1
; NumSGPRsForWavesPerEU: 14
; NumVGPRsForWavesPerEU: 11
; AccumOffset: 12
; Occupancy: 8
; WaveLimiterHint : 0
; COMPUTE_PGM_RSRC2:SCRATCH_EN: 0
; COMPUTE_PGM_RSRC2:USER_SGPR: 6
; COMPUTE_PGM_RSRC2:TRAP_HANDLER: 0
; COMPUTE_PGM_RSRC2:TGID_X_EN: 1
; COMPUTE_PGM_RSRC2:TGID_Y_EN: 0
; COMPUTE_PGM_RSRC2:TGID_Z_EN: 0
; COMPUTE_PGM_RSRC2:TIDIG_COMP_CNT: 0
; COMPUTE_PGM_RSRC3_GFX90A:ACCUM_OFFSET: 2
; COMPUTE_PGM_RSRC3_GFX90A:TG_SPLIT: 0
	.section	.text._Z21ref_fp32_cvt_e5m2fnuzIhfEvPT_PKT0_i,"axG",@progbits,_Z21ref_fp32_cvt_e5m2fnuzIhfEvPT_PKT0_i,comdat
	.protected	_Z21ref_fp32_cvt_e5m2fnuzIhfEvPT_PKT0_i ; -- Begin function _Z21ref_fp32_cvt_e5m2fnuzIhfEvPT_PKT0_i
	.globl	_Z21ref_fp32_cvt_e5m2fnuzIhfEvPT_PKT0_i
	.p2align	8
	.type	_Z21ref_fp32_cvt_e5m2fnuzIhfEvPT_PKT0_i,@function
_Z21ref_fp32_cvt_e5m2fnuzIhfEvPT_PKT0_i: ; @_Z21ref_fp32_cvt_e5m2fnuzIhfEvPT_PKT0_i
; %bb.0:
	s_load_dword s0, s[4:5], 0x24
	s_load_dword s1, s[4:5], 0x10
	s_waitcnt lgkmcnt(0)
	s_and_b32 s0, s0, 0xffff
	s_mul_i32 s6, s6, s0
	v_add_u32_e32 v0, s6, v0
	v_cmp_gt_i32_e32 vcc, s1, v0
	s_and_saveexec_b64 s[0:1], vcc
	s_cbranch_execz .LBB2_8
; %bb.1:
	s_load_dwordx4 s[0:3], s[4:5], 0x0
	v_ashrrev_i32_e32 v1, 31, v0
	v_lshlrev_b64 v[2:3], 2, v[0:1]
	s_waitcnt lgkmcnt(0)
	v_mov_b32_e32 v4, s3
	v_add_co_u32_e32 v2, vcc, s2, v2
	v_addc_co_u32_e32 v3, vcc, v4, v3, vcc
	global_load_dword v2, v[2:3], off
	s_mov_b32 s2, 0x47800000
	v_mov_b32_e32 v4, 0x80
	s_waitcnt vmcnt(0)
	v_and_b32_e32 v3, 0x7fffffff, v2
	v_cmp_gt_u32_e32 vcc, s2, v3
	s_and_saveexec_b64 s[2:3], vcc
	s_cbranch_execz .LBB2_7
; %bb.2:
	s_mov_b32 s4, 0x37ffffff
	v_cmp_lt_u32_e32 vcc, s4, v3
	s_mov_b64 s[4:5], 0
                                        ; implicit-def: $vgpr3
	s_and_saveexec_b64 s[6:7], vcc
	s_xor_b64 s[6:7], exec, s[6:7]
	s_cbranch_execnz .LBB2_9
; %bb.3:
	s_or_saveexec_b64 s[6:7], s[6:7]
                                        ; implicit-def: $sgpr8
	s_xor_b64 exec, exec, s[6:7]
	s_cbranch_execnz .LBB2_10
.LBB2_4:
	s_or_b64 exec, exec, s[6:7]
	v_mov_b32_e32 v4, s8
	s_and_saveexec_b64 s[6:7], s[4:5]
.LBB2_5:
	v_lshrrev_b32_e32 v2, 24, v2
	s_movk_i32 s4, 0x80
	v_and_or_b32 v4, v2, s4, v3
.LBB2_6:
	s_or_b64 exec, exec, s[6:7]
.LBB2_7:
	s_or_b64 exec, exec, s[2:3]
	v_mov_b32_e32 v2, s1
	v_add_co_u32_e32 v0, vcc, s0, v0
	v_addc_co_u32_e32 v1, vcc, v2, v1, vcc
	global_store_byte v[0:1], v4, off
.LBB2_8:
	s_endpgm
.LBB2_9:
	v_bfe_u32 v3, v2, 21, 1
	s_mov_b32 s8, 0x88fffff
	v_add3_u32 v3, v2, v3, s8
	s_mov_b64 s[4:5], exec
	v_lshrrev_b32_e32 v3, 21, v3
	s_or_saveexec_b64 s[6:7], s[6:7]
                                        ; implicit-def: $sgpr8
	s_xor_b64 exec, exec, s[6:7]
	s_cbranch_execz .LBB2_4
.LBB2_10:
	s_mov_b32 s8, 0x42800000
	v_add_f32_e64 v3, |v2|, s8
	v_and_b32_e32 v3, 0xff, v3
	v_cmp_ne_u32_e32 vcc, 0, v3
	s_andn2_b64 s[4:5], s[4:5], exec
	s_and_b64 s[10:11], vcc, exec
	s_mov_b32 s8, 0
	s_or_b64 s[4:5], s[4:5], s[10:11]
	s_or_b64 exec, exec, s[6:7]
	v_mov_b32_e32 v4, s8
	s_and_saveexec_b64 s[6:7], s[4:5]
	s_cbranch_execnz .LBB2_5
	s_branch .LBB2_6
	.section	.rodata,"a",@progbits
	.p2align	6, 0x0
	.amdhsa_kernel _Z21ref_fp32_cvt_e5m2fnuzIhfEvPT_PKT0_i
		.amdhsa_group_segment_fixed_size 0
		.amdhsa_private_segment_fixed_size 0
		.amdhsa_kernarg_size 280
		.amdhsa_user_sgpr_count 6
		.amdhsa_user_sgpr_private_segment_buffer 1
		.amdhsa_user_sgpr_dispatch_ptr 0
		.amdhsa_user_sgpr_queue_ptr 0
		.amdhsa_user_sgpr_kernarg_segment_ptr 1
		.amdhsa_user_sgpr_dispatch_id 0
		.amdhsa_user_sgpr_flat_scratch_init 0
		.amdhsa_user_sgpr_kernarg_preload_length 0
		.amdhsa_user_sgpr_kernarg_preload_offset 0
		.amdhsa_user_sgpr_private_segment_size 0
		.amdhsa_uses_dynamic_stack 0
		.amdhsa_system_sgpr_private_segment_wavefront_offset 0
		.amdhsa_system_sgpr_workgroup_id_x 1
		.amdhsa_system_sgpr_workgroup_id_y 0
		.amdhsa_system_sgpr_workgroup_id_z 0
		.amdhsa_system_sgpr_workgroup_info 0
		.amdhsa_system_vgpr_workitem_id 0
		.amdhsa_next_free_vgpr 5
		.amdhsa_next_free_sgpr 12
		.amdhsa_accum_offset 8
		.amdhsa_reserve_vcc 1
		.amdhsa_reserve_flat_scratch 0
		.amdhsa_float_round_mode_32 0
		.amdhsa_float_round_mode_16_64 0
		.amdhsa_float_denorm_mode_32 3
		.amdhsa_float_denorm_mode_16_64 3
		.amdhsa_dx10_clamp 1
		.amdhsa_ieee_mode 1
		.amdhsa_fp16_overflow 0
		.amdhsa_tg_split 0
		.amdhsa_exception_fp_ieee_invalid_op 0
		.amdhsa_exception_fp_denorm_src 0
		.amdhsa_exception_fp_ieee_div_zero 0
		.amdhsa_exception_fp_ieee_overflow 0
		.amdhsa_exception_fp_ieee_underflow 0
		.amdhsa_exception_fp_ieee_inexact 0
		.amdhsa_exception_int_div_zero 0
	.end_amdhsa_kernel
	.section	.text._Z21ref_fp32_cvt_e5m2fnuzIhfEvPT_PKT0_i,"axG",@progbits,_Z21ref_fp32_cvt_e5m2fnuzIhfEvPT_PKT0_i,comdat
.Lfunc_end2:
	.size	_Z21ref_fp32_cvt_e5m2fnuzIhfEvPT_PKT0_i, .Lfunc_end2-_Z21ref_fp32_cvt_e5m2fnuzIhfEvPT_PKT0_i
                                        ; -- End function
	.section	.AMDGPU.csdata,"",@progbits
; Kernel info:
; codeLenInByte = 340
; NumSgprs: 16
; NumVgprs: 5
; NumAgprs: 0
; TotalNumVgprs: 5
; ScratchSize: 0
; MemoryBound: 0
; FloatMode: 240
; IeeeMode: 1
; LDSByteSize: 0 bytes/workgroup (compile time only)
; SGPRBlocks: 1
; VGPRBlocks: 0
; NumSGPRsForWavesPerEU: 16
; NumVGPRsForWavesPerEU: 5
; AccumOffset: 8
; Occupancy: 8
; WaveLimiterHint : 0
; COMPUTE_PGM_RSRC2:SCRATCH_EN: 0
; COMPUTE_PGM_RSRC2:USER_SGPR: 6
; COMPUTE_PGM_RSRC2:TRAP_HANDLER: 0
; COMPUTE_PGM_RSRC2:TGID_X_EN: 1
; COMPUTE_PGM_RSRC2:TGID_Y_EN: 0
; COMPUTE_PGM_RSRC2:TGID_Z_EN: 0
; COMPUTE_PGM_RSRC2:TIDIG_COMP_CNT: 0
; COMPUTE_PGM_RSRC3_GFX90A:ACCUM_OFFSET: 1
; COMPUTE_PGM_RSRC3_GFX90A:TG_SPLIT: 0
	.section	.text._Z13fp32_cvt_e5m2IhfEvPT_PKT0_i,"axG",@progbits,_Z13fp32_cvt_e5m2IhfEvPT_PKT0_i,comdat
	.protected	_Z13fp32_cvt_e5m2IhfEvPT_PKT0_i ; -- Begin function _Z13fp32_cvt_e5m2IhfEvPT_PKT0_i
	.globl	_Z13fp32_cvt_e5m2IhfEvPT_PKT0_i
	.p2align	8
	.type	_Z13fp32_cvt_e5m2IhfEvPT_PKT0_i,@function
_Z13fp32_cvt_e5m2IhfEvPT_PKT0_i:        ; @_Z13fp32_cvt_e5m2IhfEvPT_PKT0_i
; %bb.0:
	s_load_dword s0, s[4:5], 0x24
	s_load_dword s1, s[4:5], 0x10
	s_waitcnt lgkmcnt(0)
	s_and_b32 s0, s0, 0xffff
	s_mul_i32 s6, s6, s0
	v_add_u32_e32 v0, s6, v0
	v_cmp_gt_i32_e32 vcc, s1, v0
	s_and_saveexec_b64 s[0:1], vcc
	s_cbranch_execz .LBB3_12
; %bb.1:
	s_load_dwordx4 s[4:7], s[4:5], 0x0
	v_ashrrev_i32_e32 v1, 31, v0
	v_lshlrev_b64 v[2:3], 2, v[0:1]
	s_movk_i32 s0, 0x7f
	s_waitcnt lgkmcnt(0)
	v_mov_b32_e32 v4, s7
	v_add_co_u32_e32 v2, vcc, s6, v2
	v_addc_co_u32_e32 v3, vcc, v4, v3, vcc
	global_load_dword v6, v[2:3], off
	v_mov_b32_e32 v3, 0
	s_waitcnt vmcnt(0)
	v_or_b32_sdwa v4, v6, s0 dst_sel:DWORD dst_unused:UNUSED_PAD src0_sel:BYTE_3 src1_sel:DWORD
	v_and_b32_e32 v2, 0x7f800000, v6
	s_mov_b64 s[0:1], 0x7f800000
	v_cmp_ne_u64_e32 vcc, s[0:1], v[2:3]
	s_and_saveexec_b64 s[0:1], vcc
	s_xor_b64 s[2:3], exec, s[0:1]
	s_cbranch_execz .LBB3_11
; %bb.2:
	v_and_b32_e32 v2, 0x7fffffff, v6
	s_mov_b64 s[0:1], 0x47600001
	v_cmp_gt_u64_e32 vcc, s[0:1], v[2:3]
	s_and_saveexec_b64 s[0:1], vcc
	s_xor_b64 s[6:7], exec, s[0:1]
	s_cbranch_execz .LBB3_10
; %bb.3:
	v_cmp_ne_u32_e32 vcc, 0, v6
	v_mov_b32_e32 v4, 0
	s_and_saveexec_b64 s[8:9], vcc
	s_cbranch_execz .LBB3_9
; %bb.4:
	v_bfe_u32 v3, v6, 23, 8
	s_movk_i32 s0, 0x70
	v_and_b32_e32 v2, 0x7fffff, v6
	v_sub_u32_e64 v4, s0, v3 clamp
	v_mov_b32_e32 v8, 0x6f
	v_cmp_eq_u32_e32 vcc, 0, v3
	v_or_b32_e32 v5, 0x800000, v2
	v_cndmask_b32_e32 v10, v4, v8, vcc
	v_cndmask_b32_e32 v4, v5, v2, vcc
	v_add_u32_e32 v2, 21, v10
	v_add_u32_e32 v7, 0xffffff91, v3
	v_lshlrev_b64 v[2:3], v2, -1
	v_mov_b32_e32 v5, 0
	v_not_b32_e32 v2, v2
	v_add_u32_e32 v8, 20, v10
	v_and_b32_e32 v2, v4, v2
	v_mov_b32_e32 v3, v5
	v_lshlrev_b64 v[8:9], v8, 1
	v_cmp_eq_u64_e64 s[0:1], v[2:3], v[8:9]
	v_lshrrev_b64 v[2:3], v10, v[4:5]
	v_mov_b32_e32 v4, 0xffffff92
	v_cndmask_b32_e32 v4, v7, v4, vcc
	v_lshrrev_b32_e32 v7, 23, v2
	v_add3_u32 v7, v4, v10, v7
	v_and_b32_e32 v4, 0x200000, v2
	v_cmp_eq_u64_e32 vcc, 0, v[4:5]
	s_and_b64 vcc, vcc, s[0:1]
	v_subbrev_co_u32_e32 v4, vcc, 0, v2, vcc
	v_and_b32_e32 v4, 0x1fffff, v4
	v_add_co_u32_e32 v2, vcc, v4, v2
	v_add_u32_e32 v8, -1, v7
	v_addc_co_u32_e32 v3, vcc, 0, v3, vcc
	v_cmp_ne_u32_e32 vcc, 0, v8
                                        ; implicit-def: $vgpr4
	s_and_saveexec_b64 s[0:1], vcc
	s_xor_b64 s[0:1], exec, s[0:1]
; %bb.5:
	v_and_b32_e32 v4, 0x1000000, v2
	v_cmp_eq_u64_e32 vcc, 0, v[4:5]
	v_bfe_u32 v5, v2, 24, 1
	v_cndmask_b32_e32 v4, v7, v8, vcc
	v_lshrrev_b64 v[2:3], v5, v[2:3]
; %bb.6:
	s_andn2_saveexec_b64 s[0:1], s[0:1]
; %bb.7:
	v_bfe_u32 v4, v2, 23, 1
; %bb.8:
	s_or_b64 exec, exec, s[0:1]
	s_movk_i32 s0, 0x80
	v_lshrrev_b64 v[2:3], 21, v[2:3]
	v_cmp_gt_i32_e32 vcc, 32, v4
	v_and_b32_sdwa v5, v6, s0 dst_sel:DWORD dst_unused:UNUSED_PAD src0_sel:BYTE_3 src1_sel:DWORD
	v_min_i32_e32 v6, 31, v4
	v_cndmask_b32_e32 v3, 0, v3, vcc
	v_cndmask_b32_e32 v2, 3, v2, vcc
	v_cmp_eq_u32_e32 vcc, 0, v4
	v_cmp_eq_u64_e64 s[0:1], 0, v[2:3]
	v_lshl_or_b32 v3, v6, 2, v5
	v_and_or_b32 v2, v2, 3, v3
	s_and_b64 s[0:1], vcc, s[0:1]
	v_cndmask_b32_e64 v4, v2, 0, s[0:1]
.LBB3_9:
	s_or_b64 exec, exec, s[8:9]
.LBB3_10:
	s_andn2_saveexec_b64 s[0:1], s[6:7]
	s_or_b64 exec, exec, s[0:1]
.LBB3_11:
	s_andn2_saveexec_b64 s[0:1], s[2:3]
	s_or_b64 exec, exec, s[0:1]
	v_mov_b32_e32 v2, s5
	v_add_co_u32_e32 v0, vcc, s4, v0
	v_addc_co_u32_e32 v1, vcc, v2, v1, vcc
	global_store_byte v[0:1], v4, off
.LBB3_12:
	s_endpgm
	.section	.rodata,"a",@progbits
	.p2align	6, 0x0
	.amdhsa_kernel _Z13fp32_cvt_e5m2IhfEvPT_PKT0_i
		.amdhsa_group_segment_fixed_size 0
		.amdhsa_private_segment_fixed_size 0
		.amdhsa_kernarg_size 280
		.amdhsa_user_sgpr_count 6
		.amdhsa_user_sgpr_private_segment_buffer 1
		.amdhsa_user_sgpr_dispatch_ptr 0
		.amdhsa_user_sgpr_queue_ptr 0
		.amdhsa_user_sgpr_kernarg_segment_ptr 1
		.amdhsa_user_sgpr_dispatch_id 0
		.amdhsa_user_sgpr_flat_scratch_init 0
		.amdhsa_user_sgpr_kernarg_preload_length 0
		.amdhsa_user_sgpr_kernarg_preload_offset 0
		.amdhsa_user_sgpr_private_segment_size 0
		.amdhsa_uses_dynamic_stack 0
		.amdhsa_system_sgpr_private_segment_wavefront_offset 0
		.amdhsa_system_sgpr_workgroup_id_x 1
		.amdhsa_system_sgpr_workgroup_id_y 0
		.amdhsa_system_sgpr_workgroup_id_z 0
		.amdhsa_system_sgpr_workgroup_info 0
		.amdhsa_system_vgpr_workitem_id 0
		.amdhsa_next_free_vgpr 11
		.amdhsa_next_free_sgpr 10
		.amdhsa_accum_offset 12
		.amdhsa_reserve_vcc 1
		.amdhsa_reserve_flat_scratch 0
		.amdhsa_float_round_mode_32 0
		.amdhsa_float_round_mode_16_64 0
		.amdhsa_float_denorm_mode_32 3
		.amdhsa_float_denorm_mode_16_64 3
		.amdhsa_dx10_clamp 1
		.amdhsa_ieee_mode 1
		.amdhsa_fp16_overflow 0
		.amdhsa_tg_split 0
		.amdhsa_exception_fp_ieee_invalid_op 0
		.amdhsa_exception_fp_denorm_src 0
		.amdhsa_exception_fp_ieee_div_zero 0
		.amdhsa_exception_fp_ieee_overflow 0
		.amdhsa_exception_fp_ieee_underflow 0
		.amdhsa_exception_fp_ieee_inexact 0
		.amdhsa_exception_int_div_zero 0
	.end_amdhsa_kernel
	.section	.text._Z13fp32_cvt_e5m2IhfEvPT_PKT0_i,"axG",@progbits,_Z13fp32_cvt_e5m2IhfEvPT_PKT0_i,comdat
.Lfunc_end3:
	.size	_Z13fp32_cvt_e5m2IhfEvPT_PKT0_i, .Lfunc_end3-_Z13fp32_cvt_e5m2IhfEvPT_PKT0_i
                                        ; -- End function
	.section	.AMDGPU.csdata,"",@progbits
; Kernel info:
; codeLenInByte = 556
; NumSgprs: 14
; NumVgprs: 11
; NumAgprs: 0
; TotalNumVgprs: 11
; ScratchSize: 0
; MemoryBound: 0
; FloatMode: 240
; IeeeMode: 1
; LDSByteSize: 0 bytes/workgroup (compile time only)
; SGPRBlocks: 1
; VGPRBlocks: 1
; NumSGPRsForWavesPerEU: 14
; NumVGPRsForWavesPerEU: 11
; AccumOffset: 12
; Occupancy: 8
; WaveLimiterHint : 0
; COMPUTE_PGM_RSRC2:SCRATCH_EN: 0
; COMPUTE_PGM_RSRC2:USER_SGPR: 6
; COMPUTE_PGM_RSRC2:TRAP_HANDLER: 0
; COMPUTE_PGM_RSRC2:TGID_X_EN: 1
; COMPUTE_PGM_RSRC2:TGID_Y_EN: 0
; COMPUTE_PGM_RSRC2:TGID_Z_EN: 0
; COMPUTE_PGM_RSRC2:TIDIG_COMP_CNT: 0
; COMPUTE_PGM_RSRC3_GFX90A:ACCUM_OFFSET: 2
; COMPUTE_PGM_RSRC3_GFX90A:TG_SPLIT: 0
	.text
	.p2alignl 6, 3212836864
	.fill 256, 4, 3212836864
	.type	__hip_cuid_119cc79c49c89596,@object ; @__hip_cuid_119cc79c49c89596
	.section	.bss,"aw",@nobits
	.globl	__hip_cuid_119cc79c49c89596
__hip_cuid_119cc79c49c89596:
	.byte	0                               ; 0x0
	.size	__hip_cuid_119cc79c49c89596, 1

	.ident	"AMD clang version 19.0.0git (https://github.com/RadeonOpenCompute/llvm-project roc-6.4.0 25133 c7fe45cf4b819c5991fe208aaa96edf142730f1d)"
	.section	".note.GNU-stack","",@progbits
	.addrsig
	.addrsig_sym __hip_cuid_119cc79c49c89596
	.amdgpu_metadata
---
amdhsa.kernels:
  - .agpr_count:     0
    .args:
      - .actual_access:  write_only
        .address_space:  global
        .offset:         0
        .size:           8
        .value_kind:     global_buffer
      - .actual_access:  read_only
        .address_space:  global
        .offset:         8
        .size:           8
        .value_kind:     global_buffer
      - .offset:         16
        .size:           4
        .value_kind:     by_value
      - .offset:         24
        .size:           4
        .value_kind:     hidden_block_count_x
      - .offset:         28
        .size:           4
        .value_kind:     hidden_block_count_y
      - .offset:         32
        .size:           4
        .value_kind:     hidden_block_count_z
      - .offset:         36
        .size:           2
        .value_kind:     hidden_group_size_x
      - .offset:         38
        .size:           2
        .value_kind:     hidden_group_size_y
      - .offset:         40
        .size:           2
        .value_kind:     hidden_group_size_z
      - .offset:         42
        .size:           2
        .value_kind:     hidden_remainder_x
      - .offset:         44
        .size:           2
        .value_kind:     hidden_remainder_y
      - .offset:         46
        .size:           2
        .value_kind:     hidden_remainder_z
      - .offset:         64
        .size:           8
        .value_kind:     hidden_global_offset_x
      - .offset:         72
        .size:           8
        .value_kind:     hidden_global_offset_y
      - .offset:         80
        .size:           8
        .value_kind:     hidden_global_offset_z
      - .offset:         88
        .size:           2
        .value_kind:     hidden_grid_dims
    .group_segment_fixed_size: 0
    .kernarg_segment_align: 8
    .kernarg_segment_size: 280
    .language:       OpenCL C
    .language_version:
      - 2
      - 0
    .max_flat_workgroup_size: 1024
    .name:           _Z21ref_fp32_cvt_e4m3fnuzIhfEvPT_PKT0_i
    .private_segment_fixed_size: 0
    .sgpr_count:     16
    .sgpr_spill_count: 0
    .symbol:         _Z21ref_fp32_cvt_e4m3fnuzIhfEvPT_PKT0_i.kd
    .uniform_work_group_size: 1
    .uses_dynamic_stack: false
    .vgpr_count:     5
    .vgpr_spill_count: 0
    .wavefront_size: 64
  - .agpr_count:     0
    .args:
      - .actual_access:  write_only
        .address_space:  global
        .offset:         0
        .size:           8
        .value_kind:     global_buffer
      - .actual_access:  read_only
        .address_space:  global
        .offset:         8
        .size:           8
        .value_kind:     global_buffer
      - .offset:         16
        .size:           4
        .value_kind:     by_value
      - .offset:         24
        .size:           4
        .value_kind:     hidden_block_count_x
      - .offset:         28
        .size:           4
        .value_kind:     hidden_block_count_y
      - .offset:         32
        .size:           4
        .value_kind:     hidden_block_count_z
      - .offset:         36
        .size:           2
        .value_kind:     hidden_group_size_x
      - .offset:         38
        .size:           2
        .value_kind:     hidden_group_size_y
      - .offset:         40
        .size:           2
        .value_kind:     hidden_group_size_z
      - .offset:         42
        .size:           2
        .value_kind:     hidden_remainder_x
      - .offset:         44
        .size:           2
        .value_kind:     hidden_remainder_y
      - .offset:         46
        .size:           2
        .value_kind:     hidden_remainder_z
      - .offset:         64
        .size:           8
        .value_kind:     hidden_global_offset_x
      - .offset:         72
        .size:           8
        .value_kind:     hidden_global_offset_y
      - .offset:         80
        .size:           8
        .value_kind:     hidden_global_offset_z
      - .offset:         88
        .size:           2
        .value_kind:     hidden_grid_dims
    .group_segment_fixed_size: 0
    .kernarg_segment_align: 8
    .kernarg_segment_size: 280
    .language:       OpenCL C
    .language_version:
      - 2
      - 0
    .max_flat_workgroup_size: 1024
    .name:           _Z13fp32_cvt_e4m3IhfEvPT_PKT0_i
    .private_segment_fixed_size: 0
    .sgpr_count:     14
    .sgpr_spill_count: 0
    .symbol:         _Z13fp32_cvt_e4m3IhfEvPT_PKT0_i.kd
    .uniform_work_group_size: 1
    .uses_dynamic_stack: false
    .vgpr_count:     11
    .vgpr_spill_count: 0
    .wavefront_size: 64
  - .agpr_count:     0
    .args:
      - .actual_access:  write_only
        .address_space:  global
        .offset:         0
        .size:           8
        .value_kind:     global_buffer
      - .actual_access:  read_only
        .address_space:  global
        .offset:         8
        .size:           8
        .value_kind:     global_buffer
      - .offset:         16
        .size:           4
        .value_kind:     by_value
      - .offset:         24
        .size:           4
        .value_kind:     hidden_block_count_x
      - .offset:         28
        .size:           4
        .value_kind:     hidden_block_count_y
      - .offset:         32
        .size:           4
        .value_kind:     hidden_block_count_z
      - .offset:         36
        .size:           2
        .value_kind:     hidden_group_size_x
      - .offset:         38
        .size:           2
        .value_kind:     hidden_group_size_y
      - .offset:         40
        .size:           2
        .value_kind:     hidden_group_size_z
      - .offset:         42
        .size:           2
        .value_kind:     hidden_remainder_x
      - .offset:         44
        .size:           2
        .value_kind:     hidden_remainder_y
      - .offset:         46
        .size:           2
        .value_kind:     hidden_remainder_z
      - .offset:         64
        .size:           8
        .value_kind:     hidden_global_offset_x
      - .offset:         72
        .size:           8
        .value_kind:     hidden_global_offset_y
      - .offset:         80
        .size:           8
        .value_kind:     hidden_global_offset_z
      - .offset:         88
        .size:           2
        .value_kind:     hidden_grid_dims
    .group_segment_fixed_size: 0
    .kernarg_segment_align: 8
    .kernarg_segment_size: 280
    .language:       OpenCL C
    .language_version:
      - 2
      - 0
    .max_flat_workgroup_size: 1024
    .name:           _Z21ref_fp32_cvt_e5m2fnuzIhfEvPT_PKT0_i
    .private_segment_fixed_size: 0
    .sgpr_count:     16
    .sgpr_spill_count: 0
    .symbol:         _Z21ref_fp32_cvt_e5m2fnuzIhfEvPT_PKT0_i.kd
    .uniform_work_group_size: 1
    .uses_dynamic_stack: false
    .vgpr_count:     5
    .vgpr_spill_count: 0
    .wavefront_size: 64
  - .agpr_count:     0
    .args:
      - .actual_access:  write_only
        .address_space:  global
        .offset:         0
        .size:           8
        .value_kind:     global_buffer
      - .actual_access:  read_only
        .address_space:  global
        .offset:         8
        .size:           8
        .value_kind:     global_buffer
      - .offset:         16
        .size:           4
        .value_kind:     by_value
      - .offset:         24
        .size:           4
        .value_kind:     hidden_block_count_x
      - .offset:         28
        .size:           4
        .value_kind:     hidden_block_count_y
      - .offset:         32
        .size:           4
        .value_kind:     hidden_block_count_z
      - .offset:         36
        .size:           2
        .value_kind:     hidden_group_size_x
      - .offset:         38
        .size:           2
        .value_kind:     hidden_group_size_y
      - .offset:         40
        .size:           2
        .value_kind:     hidden_group_size_z
      - .offset:         42
        .size:           2
        .value_kind:     hidden_remainder_x
      - .offset:         44
        .size:           2
        .value_kind:     hidden_remainder_y
      - .offset:         46
        .size:           2
        .value_kind:     hidden_remainder_z
      - .offset:         64
        .size:           8
        .value_kind:     hidden_global_offset_x
      - .offset:         72
        .size:           8
        .value_kind:     hidden_global_offset_y
      - .offset:         80
        .size:           8
        .value_kind:     hidden_global_offset_z
      - .offset:         88
        .size:           2
        .value_kind:     hidden_grid_dims
    .group_segment_fixed_size: 0
    .kernarg_segment_align: 8
    .kernarg_segment_size: 280
    .language:       OpenCL C
    .language_version:
      - 2
      - 0
    .max_flat_workgroup_size: 1024
    .name:           _Z13fp32_cvt_e5m2IhfEvPT_PKT0_i
    .private_segment_fixed_size: 0
    .sgpr_count:     14
    .sgpr_spill_count: 0
    .symbol:         _Z13fp32_cvt_e5m2IhfEvPT_PKT0_i.kd
    .uniform_work_group_size: 1
    .uses_dynamic_stack: false
    .vgpr_count:     11
    .vgpr_spill_count: 0
    .wavefront_size: 64
amdhsa.target:   amdgcn-amd-amdhsa--gfx90a
amdhsa.version:
  - 1
  - 2
...

	.end_amdgpu_metadata
